;; amdgpu-corpus repo=LLNL/RAJAPerf kind=compiled arch=gfx1100 opt=O3
	.text
	.amdgcn_target "amdgcn-amd-amdhsa--gfx1100"
	.amdhsa_code_object_version 6
	.section	.text._ZN8rajaperf5lcals11int_predictILm256EEEvPdddddddddll,"axG",@progbits,_ZN8rajaperf5lcals11int_predictILm256EEEvPdddddddddll,comdat
	.protected	_ZN8rajaperf5lcals11int_predictILm256EEEvPdddddddddll ; -- Begin function _ZN8rajaperf5lcals11int_predictILm256EEEvPdddddddddll
	.globl	_ZN8rajaperf5lcals11int_predictILm256EEEvPdddddddddll
	.p2align	8
	.type	_ZN8rajaperf5lcals11int_predictILm256EEEvPdddddddddll,@function
_ZN8rajaperf5lcals11int_predictILm256EEEvPdddddddddll: ; @_ZN8rajaperf5lcals11int_predictILm256EEEvPdddddddddll
; %bb.0:
	s_load_b64 s[4:5], s[0:1], 0x50
	s_mov_b32 s2, s15
	s_mov_b32 s3, 0
	s_delay_alu instid0(SALU_CYCLE_1) | instskip(NEXT) | instid1(SALU_CYCLE_1)
	s_lshl_b64 s[2:3], s[2:3], 8
	v_or_b32_e32 v0, s2, v0
	v_mov_b32_e32 v1, s3
	s_mov_b32 s2, exec_lo
	s_waitcnt lgkmcnt(0)
	s_delay_alu instid0(VALU_DEP_1)
	v_cmpx_gt_i64_e64 s[4:5], v[0:1]
	s_cbranch_execz .LBB0_2
; %bb.1:
	s_clause 0x1
	s_load_b512 s[4:19], s[0:1], 0x0
	s_load_b128 s[0:3], s[0:1], 0x40
	v_lshlrev_b64 v[0:1], 3, v[0:1]
	s_waitcnt lgkmcnt(0)
	s_delay_alu instid0(VALU_DEP_1) | instskip(NEXT) | instid1(VALU_DEP_2)
	v_add_co_u32 v0, vcc_lo, s4, v0
	v_add_co_ci_u32_e32 v1, vcc_lo, s5, v1, vcc_lo
	s_lshl_b64 s[4:5], s[2:3], 6
	s_delay_alu instid0(VALU_DEP_1) | instskip(SKIP_2) | instid1(VALU_DEP_3)
	v_mad_u64_u32 v[2:3], null, 0x58, s2, v[0:1]
	v_mad_u64_u32 v[12:13], null, s2, 56, v[0:1]
	;; [unrolled: 1-line block ×4, first 2 shown]
	s_delay_alu instid0(VALU_DEP_3) | instskip(NEXT) | instid1(VALU_DEP_2)
	v_mad_u64_u32 v[14:15], null, s3, 56, v[13:14]
	v_mov_b32_e32 v3, v4
	v_mad_u64_u32 v[4:5], null, 0x60, s2, v[0:1]
	s_delay_alu instid0(VALU_DEP_3)
	v_mov_b32_e32 v13, v14
	v_mad_u64_u32 v[14:15], null, s2, 48, v[0:1]
	s_clause 0x1
	global_load_b64 v[2:3], v[2:3], off
	global_load_b64 v[12:13], v[12:13], off
	v_mad_u64_u32 v[6:7], null, 0x60, s3, v[5:6]
	v_mad_u64_u32 v[18:19], null, s3, 48, v[15:16]
	s_delay_alu instid0(VALU_DEP_2) | instskip(SKIP_1) | instid1(VALU_DEP_3)
	v_mov_b32_e32 v5, v6
	v_mad_u64_u32 v[6:7], null, 0x50, s2, v[0:1]
	v_mad_u64_u32 v[19:20], null, s3, 40, v[17:18]
	global_load_b64 v[4:5], v[4:5], off
	v_mov_b32_e32 v15, v18
	v_mad_u64_u32 v[8:9], null, 0x50, s3, v[7:8]
	v_mov_b32_e32 v17, v19
	s_delay_alu instid0(VALU_DEP_2) | instskip(SKIP_3) | instid1(VALU_DEP_1)
	v_mov_b32_e32 v7, v8
	v_mad_u64_u32 v[8:9], null, 0x48, s2, v[0:1]
	global_load_b64 v[6:7], v[6:7], off
	v_mad_u64_u32 v[10:11], null, 0x48, s3, v[9:10]
	v_mov_b32_e32 v9, v10
	v_add_co_u32 v10, vcc_lo, v0, s4
	v_add_co_ci_u32_e32 v11, vcc_lo, s5, v1, vcc_lo
	global_load_b64 v[8:9], v[8:9], off
	s_lshl_b64 s[4:5], s[2:3], 5
	s_lshl_b64 s[2:3], s[2:3], 4
	global_load_b64 v[10:11], v[10:11], off
	v_add_co_u32 v20, vcc_lo, v0, s4
	v_add_co_ci_u32_e32 v21, vcc_lo, s5, v1, vcc_lo
	s_clause 0x2
	global_load_b64 v[18:19], v[20:21], off
	global_load_b64 v[14:15], v[14:15], off
	;; [unrolled: 1-line block ×3, first 2 shown]
	v_add_co_u32 v20, vcc_lo, v0, s2
	v_add_co_ci_u32_e32 v21, vcc_lo, s3, v1, vcc_lo
	global_load_b64 v[20:21], v[20:21], off
	s_waitcnt vmcnt(9)
	v_mul_f64 v[2:3], v[2:3], s[16:17]
	s_waitcnt vmcnt(7)
	s_delay_alu instid0(VALU_DEP_1) | instskip(SKIP_2) | instid1(VALU_DEP_2)
	v_fma_f64 v[2:3], v[4:5], s[18:19], v[2:3]
	s_waitcnt vmcnt(1)
	v_add_f64 v[4:5], v[18:19], v[16:17]
	v_fma_f64 v[2:3], v[6:7], s[14:15], v[2:3]
	s_delay_alu instid0(VALU_DEP_1) | instskip(NEXT) | instid1(VALU_DEP_1)
	v_fma_f64 v[2:3], v[8:9], s[12:13], v[2:3]
	v_fma_f64 v[2:3], v[10:11], s[10:11], v[2:3]
	s_delay_alu instid0(VALU_DEP_1) | instskip(NEXT) | instid1(VALU_DEP_1)
	v_fma_f64 v[2:3], v[12:13], s[8:9], v[2:3]
	v_fma_f64 v[2:3], v[14:15], s[6:7], v[2:3]
	s_delay_alu instid0(VALU_DEP_1) | instskip(SKIP_1) | instid1(VALU_DEP_1)
	v_fma_f64 v[2:3], v[4:5], s[0:1], v[2:3]
	s_waitcnt vmcnt(0)
	v_add_f64 v[2:3], v[20:21], v[2:3]
	global_store_b64 v[0:1], v[2:3], off
.LBB0_2:
	s_nop 0
	s_sendmsg sendmsg(MSG_DEALLOC_VGPRS)
	s_endpgm
	.section	.rodata,"a",@progbits
	.p2align	6, 0x0
	.amdhsa_kernel _ZN8rajaperf5lcals11int_predictILm256EEEvPdddddddddll
		.amdhsa_group_segment_fixed_size 0
		.amdhsa_private_segment_fixed_size 0
		.amdhsa_kernarg_size 88
		.amdhsa_user_sgpr_count 15
		.amdhsa_user_sgpr_dispatch_ptr 0
		.amdhsa_user_sgpr_queue_ptr 0
		.amdhsa_user_sgpr_kernarg_segment_ptr 1
		.amdhsa_user_sgpr_dispatch_id 0
		.amdhsa_user_sgpr_private_segment_size 0
		.amdhsa_wavefront_size32 1
		.amdhsa_uses_dynamic_stack 0
		.amdhsa_enable_private_segment 0
		.amdhsa_system_sgpr_workgroup_id_x 1
		.amdhsa_system_sgpr_workgroup_id_y 0
		.amdhsa_system_sgpr_workgroup_id_z 0
		.amdhsa_system_sgpr_workgroup_info 0
		.amdhsa_system_vgpr_workitem_id 0
		.amdhsa_next_free_vgpr 22
		.amdhsa_next_free_sgpr 20
		.amdhsa_reserve_vcc 1
		.amdhsa_float_round_mode_32 0
		.amdhsa_float_round_mode_16_64 0
		.amdhsa_float_denorm_mode_32 3
		.amdhsa_float_denorm_mode_16_64 3
		.amdhsa_dx10_clamp 1
		.amdhsa_ieee_mode 1
		.amdhsa_fp16_overflow 0
		.amdhsa_workgroup_processor_mode 1
		.amdhsa_memory_ordered 1
		.amdhsa_forward_progress 0
		.amdhsa_shared_vgpr_count 0
		.amdhsa_exception_fp_ieee_invalid_op 0
		.amdhsa_exception_fp_denorm_src 0
		.amdhsa_exception_fp_ieee_div_zero 0
		.amdhsa_exception_fp_ieee_overflow 0
		.amdhsa_exception_fp_ieee_underflow 0
		.amdhsa_exception_fp_ieee_inexact 0
		.amdhsa_exception_int_div_zero 0
	.end_amdhsa_kernel
	.section	.text._ZN8rajaperf5lcals11int_predictILm256EEEvPdddddddddll,"axG",@progbits,_ZN8rajaperf5lcals11int_predictILm256EEEvPdddddddddll,comdat
.Lfunc_end0:
	.size	_ZN8rajaperf5lcals11int_predictILm256EEEvPdddddddddll, .Lfunc_end0-_ZN8rajaperf5lcals11int_predictILm256EEEvPdddddddddll
                                        ; -- End function
	.section	.AMDGPU.csdata,"",@progbits
; Kernel info:
; codeLenInByte = 564
; NumSgprs: 22
; NumVgprs: 22
; ScratchSize: 0
; MemoryBound: 0
; FloatMode: 240
; IeeeMode: 1
; LDSByteSize: 0 bytes/workgroup (compile time only)
; SGPRBlocks: 2
; VGPRBlocks: 2
; NumSGPRsForWavesPerEU: 22
; NumVGPRsForWavesPerEU: 22
; Occupancy: 16
; WaveLimiterHint : 0
; COMPUTE_PGM_RSRC2:SCRATCH_EN: 0
; COMPUTE_PGM_RSRC2:USER_SGPR: 15
; COMPUTE_PGM_RSRC2:TRAP_HANDLER: 0
; COMPUTE_PGM_RSRC2:TGID_X_EN: 1
; COMPUTE_PGM_RSRC2:TGID_Y_EN: 0
; COMPUTE_PGM_RSRC2:TGID_Z_EN: 0
; COMPUTE_PGM_RSRC2:TIDIG_COMP_CNT: 0
	.section	.text._ZN4RAJA6policy3hip4impl18forallp_hip_kernelINS1_8hip_execINS_17iteration_mapping6DirectENS_3hip11IndexGlobalILNS_9named_dimE0ELi256ELi0EEENS7_40AvoidDeviceMaxThreadOccupancyConcretizerINS7_34FractionOffsetOccupancyConcretizerINS_8FractionImLm1ELm1EEELln1EEEEELb1EEENS_9Iterators16numeric_iteratorIllPlEEZN8rajaperf5lcals11INT_PREDICT17runHipVariantImplILm256EEEvNSM_9VariantIDEEUllE_lNS_4expt15ForallParamPackIJEEES6_SA_TnNSt9enable_ifIXaasr3std10is_base_ofINS5_10DirectBaseET4_EE5valuegtsrT5_10block_sizeLi0EEmE4typeELm256EEEvT1_T0_T2_T3_,"axG",@progbits,_ZN4RAJA6policy3hip4impl18forallp_hip_kernelINS1_8hip_execINS_17iteration_mapping6DirectENS_3hip11IndexGlobalILNS_9named_dimE0ELi256ELi0EEENS7_40AvoidDeviceMaxThreadOccupancyConcretizerINS7_34FractionOffsetOccupancyConcretizerINS_8FractionImLm1ELm1EEELln1EEEEELb1EEENS_9Iterators16numeric_iteratorIllPlEEZN8rajaperf5lcals11INT_PREDICT17runHipVariantImplILm256EEEvNSM_9VariantIDEEUllE_lNS_4expt15ForallParamPackIJEEES6_SA_TnNSt9enable_ifIXaasr3std10is_base_ofINS5_10DirectBaseET4_EE5valuegtsrT5_10block_sizeLi0EEmE4typeELm256EEEvT1_T0_T2_T3_,comdat
	.protected	_ZN4RAJA6policy3hip4impl18forallp_hip_kernelINS1_8hip_execINS_17iteration_mapping6DirectENS_3hip11IndexGlobalILNS_9named_dimE0ELi256ELi0EEENS7_40AvoidDeviceMaxThreadOccupancyConcretizerINS7_34FractionOffsetOccupancyConcretizerINS_8FractionImLm1ELm1EEELln1EEEEELb1EEENS_9Iterators16numeric_iteratorIllPlEEZN8rajaperf5lcals11INT_PREDICT17runHipVariantImplILm256EEEvNSM_9VariantIDEEUllE_lNS_4expt15ForallParamPackIJEEES6_SA_TnNSt9enable_ifIXaasr3std10is_base_ofINS5_10DirectBaseET4_EE5valuegtsrT5_10block_sizeLi0EEmE4typeELm256EEEvT1_T0_T2_T3_ ; -- Begin function _ZN4RAJA6policy3hip4impl18forallp_hip_kernelINS1_8hip_execINS_17iteration_mapping6DirectENS_3hip11IndexGlobalILNS_9named_dimE0ELi256ELi0EEENS7_40AvoidDeviceMaxThreadOccupancyConcretizerINS7_34FractionOffsetOccupancyConcretizerINS_8FractionImLm1ELm1EEELln1EEEEELb1EEENS_9Iterators16numeric_iteratorIllPlEEZN8rajaperf5lcals11INT_PREDICT17runHipVariantImplILm256EEEvNSM_9VariantIDEEUllE_lNS_4expt15ForallParamPackIJEEES6_SA_TnNSt9enable_ifIXaasr3std10is_base_ofINS5_10DirectBaseET4_EE5valuegtsrT5_10block_sizeLi0EEmE4typeELm256EEEvT1_T0_T2_T3_
	.globl	_ZN4RAJA6policy3hip4impl18forallp_hip_kernelINS1_8hip_execINS_17iteration_mapping6DirectENS_3hip11IndexGlobalILNS_9named_dimE0ELi256ELi0EEENS7_40AvoidDeviceMaxThreadOccupancyConcretizerINS7_34FractionOffsetOccupancyConcretizerINS_8FractionImLm1ELm1EEELln1EEEEELb1EEENS_9Iterators16numeric_iteratorIllPlEEZN8rajaperf5lcals11INT_PREDICT17runHipVariantImplILm256EEEvNSM_9VariantIDEEUllE_lNS_4expt15ForallParamPackIJEEES6_SA_TnNSt9enable_ifIXaasr3std10is_base_ofINS5_10DirectBaseET4_EE5valuegtsrT5_10block_sizeLi0EEmE4typeELm256EEEvT1_T0_T2_T3_
	.p2align	8
	.type	_ZN4RAJA6policy3hip4impl18forallp_hip_kernelINS1_8hip_execINS_17iteration_mapping6DirectENS_3hip11IndexGlobalILNS_9named_dimE0ELi256ELi0EEENS7_40AvoidDeviceMaxThreadOccupancyConcretizerINS7_34FractionOffsetOccupancyConcretizerINS_8FractionImLm1ELm1EEELln1EEEEELb1EEENS_9Iterators16numeric_iteratorIllPlEEZN8rajaperf5lcals11INT_PREDICT17runHipVariantImplILm256EEEvNSM_9VariantIDEEUllE_lNS_4expt15ForallParamPackIJEEES6_SA_TnNSt9enable_ifIXaasr3std10is_base_ofINS5_10DirectBaseET4_EE5valuegtsrT5_10block_sizeLi0EEmE4typeELm256EEEvT1_T0_T2_T3_,@function
_ZN4RAJA6policy3hip4impl18forallp_hip_kernelINS1_8hip_execINS_17iteration_mapping6DirectENS_3hip11IndexGlobalILNS_9named_dimE0ELi256ELi0EEENS7_40AvoidDeviceMaxThreadOccupancyConcretizerINS7_34FractionOffsetOccupancyConcretizerINS_8FractionImLm1ELm1EEELln1EEEEELb1EEENS_9Iterators16numeric_iteratorIllPlEEZN8rajaperf5lcals11INT_PREDICT17runHipVariantImplILm256EEEvNSM_9VariantIDEEUllE_lNS_4expt15ForallParamPackIJEEES6_SA_TnNSt9enable_ifIXaasr3std10is_base_ofINS5_10DirectBaseET4_EE5valuegtsrT5_10block_sizeLi0EEmE4typeELm256EEEvT1_T0_T2_T3_: ; @_ZN4RAJA6policy3hip4impl18forallp_hip_kernelINS1_8hip_execINS_17iteration_mapping6DirectENS_3hip11IndexGlobalILNS_9named_dimE0ELi256ELi0EEENS7_40AvoidDeviceMaxThreadOccupancyConcretizerINS7_34FractionOffsetOccupancyConcretizerINS_8FractionImLm1ELm1EEELln1EEEEELb1EEENS_9Iterators16numeric_iteratorIllPlEEZN8rajaperf5lcals11INT_PREDICT17runHipVariantImplILm256EEEvNSM_9VariantIDEEUllE_lNS_4expt15ForallParamPackIJEEES6_SA_TnNSt9enable_ifIXaasr3std10is_base_ofINS5_10DirectBaseET4_EE5valuegtsrT5_10block_sizeLi0EEmE4typeELm256EEEvT1_T0_T2_T3_
; %bb.0:
	s_load_b128 s[20:23], s[0:1], 0x50
	s_mov_b32 s2, s15
	s_mov_b32 s3, 0
	s_delay_alu instid0(SALU_CYCLE_1) | instskip(NEXT) | instid1(SALU_CYCLE_1)
	s_lshl_b64 s[2:3], s[2:3], 8
	v_or_b32_e32 v0, s2, v0
	v_mov_b32_e32 v1, s3
	s_mov_b32 s2, exec_lo
	s_waitcnt lgkmcnt(0)
	s_delay_alu instid0(VALU_DEP_1)
	v_cmpx_gt_i64_e64 s[22:23], v[0:1]
	s_cbranch_execz .LBB1_2
; %bb.1:
	s_load_b512 s[4:19], s[0:1], 0x0
	v_add_co_u32 v0, vcc_lo, v0, s20
	v_add_co_ci_u32_e32 v1, vcc_lo, s21, v1, vcc_lo
	s_delay_alu instid0(VALU_DEP_1)
	v_lshlrev_b64 v[0:1], 3, v[0:1]
	s_waitcnt lgkmcnt(0)
	s_mul_i32 s2, s9, 0x60
	s_mul_hi_u32 s3, s8, 0x60
	s_mul_i32 s20, s8, 0x60
	s_mul_i32 s21, s9, 0x58
	s_mul_hi_u32 s22, s8, 0x58
	s_add_i32 s3, s3, s2
	s_mul_i32 s23, s8, 0x58
	s_add_u32 s2, s4, s20
	s_addc_u32 s3, s5, s3
	s_add_i32 s22, s22, s21
	s_add_u32 s20, s4, s23
	s_addc_u32 s21, s5, s22
	v_add_co_u32 v2, vcc_lo, s20, v0
	v_add_co_ci_u32_e32 v3, vcc_lo, s21, v1, vcc_lo
	v_add_co_u32 v4, vcc_lo, s2, v0
	v_add_co_ci_u32_e32 v5, vcc_lo, s3, v1, vcc_lo
	global_load_b64 v[2:3], v[2:3], off
	s_mul_i32 s2, s9, 0x50
	s_mul_hi_u32 s3, s8, 0x50
	global_load_b64 v[4:5], v[4:5], off
	s_mul_i32 s20, s8, 0x50
	s_add_i32 s3, s3, s2
	s_add_u32 s2, s4, s20
	s_addc_u32 s3, s5, s3
	v_add_co_u32 v6, vcc_lo, s2, v0
	v_add_co_ci_u32_e32 v7, vcc_lo, s3, v1, vcc_lo
	s_mul_i32 s2, s9, 0x48
	s_mul_hi_u32 s3, s8, 0x48
	s_mul_i32 s20, s8, 0x48
	global_load_b64 v[6:7], v[6:7], off
	s_add_i32 s3, s3, s2
	s_add_u32 s2, s4, s20
	s_addc_u32 s3, s5, s3
	v_add_co_u32 v8, vcc_lo, s2, v0
	v_add_co_ci_u32_e32 v9, vcc_lo, s3, v1, vcc_lo
	s_lshl_b64 s[2:3], s[8:9], 6
	s_mul_i32 s20, s8, 56
	s_add_u32 s2, s4, s2
	global_load_b64 v[8:9], v[8:9], off
	s_addc_u32 s3, s5, s3
	v_add_co_u32 v10, vcc_lo, s2, v0
	v_add_co_ci_u32_e32 v11, vcc_lo, s3, v1, vcc_lo
	s_mul_i32 s2, s9, 56
	s_mul_hi_u32 s3, s8, 56
	s_mul_i32 s21, s9, 40
	global_load_b64 v[10:11], v[10:11], off
	s_add_i32 s3, s3, s2
	s_add_u32 s2, s4, s20
	s_addc_u32 s3, s5, s3
	v_add_co_u32 v12, vcc_lo, s2, v0
	v_add_co_ci_u32_e32 v13, vcc_lo, s3, v1, vcc_lo
	s_mul_i32 s2, s9, 48
	s_mul_hi_u32 s3, s8, 48
	s_mul_i32 s20, s8, 48
	global_load_b64 v[12:13], v[12:13], off
	s_add_i32 s3, s3, s2
	s_add_u32 s20, s4, s20
	s_addc_u32 s24, s5, s3
	s_lshl_b64 s[2:3], s[8:9], 5
	v_add_co_u32 v14, vcc_lo, s20, v0
	s_mul_hi_u32 s22, s8, 40
	s_add_u32 s2, s4, s2
	s_mul_i32 s23, s8, 40
	v_add_co_ci_u32_e32 v15, vcc_lo, s24, v1, vcc_lo
	s_addc_u32 s3, s5, s3
	s_add_i32 s22, s22, s21
	v_add_co_u32 v16, vcc_lo, s2, v0
	s_add_u32 s20, s4, s23
	v_add_co_ci_u32_e32 v17, vcc_lo, s3, v1, vcc_lo
	s_addc_u32 s2, s5, s22
	v_add_co_u32 v18, vcc_lo, s20, v0
	v_add_co_ci_u32_e32 v19, vcc_lo, s2, v1, vcc_lo
	s_clause 0x2
	global_load_b64 v[14:15], v[14:15], off
	global_load_b64 v[16:17], v[16:17], off
	;; [unrolled: 1-line block ×3, first 2 shown]
	s_lshl_b64 s[2:3], s[8:9], 4
	s_delay_alu instid0(SALU_CYCLE_1)
	s_add_u32 s2, s4, s2
	s_addc_u32 s3, s5, s3
	v_add_co_u32 v20, vcc_lo, s2, v0
	v_add_co_ci_u32_e32 v21, vcc_lo, s3, v1, vcc_lo
	s_load_b128 s[0:3], s[0:1], 0x40
	v_add_co_u32 v0, vcc_lo, s4, v0
	global_load_b64 v[20:21], v[20:21], off
	v_add_co_ci_u32_e32 v1, vcc_lo, s5, v1, vcc_lo
	s_waitcnt vmcnt(9)
	v_mul_f64 v[2:3], s[10:11], v[2:3]
	s_waitcnt vmcnt(8)
	s_delay_alu instid0(VALU_DEP_1) | instskip(SKIP_2) | instid1(VALU_DEP_2)
	v_fma_f64 v[2:3], s[6:7], v[4:5], v[2:3]
	s_waitcnt vmcnt(1)
	v_add_f64 v[4:5], v[16:17], v[18:19]
	v_fma_f64 v[2:3], s[12:13], v[6:7], v[2:3]
	s_delay_alu instid0(VALU_DEP_1) | instskip(NEXT) | instid1(VALU_DEP_1)
	v_fma_f64 v[2:3], s[14:15], v[8:9], v[2:3]
	v_fma_f64 v[2:3], s[16:17], v[10:11], v[2:3]
	s_delay_alu instid0(VALU_DEP_1) | instskip(SKIP_1) | instid1(VALU_DEP_1)
	v_fma_f64 v[2:3], s[18:19], v[12:13], v[2:3]
	s_waitcnt lgkmcnt(0)
	v_fma_f64 v[2:3], s[0:1], v[14:15], v[2:3]
	s_delay_alu instid0(VALU_DEP_1) | instskip(SKIP_1) | instid1(VALU_DEP_1)
	v_fma_f64 v[2:3], s[2:3], v[4:5], v[2:3]
	s_waitcnt vmcnt(0)
	v_add_f64 v[2:3], v[20:21], v[2:3]
	global_store_b64 v[0:1], v[2:3], off
.LBB1_2:
	s_nop 0
	s_sendmsg sendmsg(MSG_DEALLOC_VGPRS)
	s_endpgm
	.section	.rodata,"a",@progbits
	.p2align	6, 0x0
	.amdhsa_kernel _ZN4RAJA6policy3hip4impl18forallp_hip_kernelINS1_8hip_execINS_17iteration_mapping6DirectENS_3hip11IndexGlobalILNS_9named_dimE0ELi256ELi0EEENS7_40AvoidDeviceMaxThreadOccupancyConcretizerINS7_34FractionOffsetOccupancyConcretizerINS_8FractionImLm1ELm1EEELln1EEEEELb1EEENS_9Iterators16numeric_iteratorIllPlEEZN8rajaperf5lcals11INT_PREDICT17runHipVariantImplILm256EEEvNSM_9VariantIDEEUllE_lNS_4expt15ForallParamPackIJEEES6_SA_TnNSt9enable_ifIXaasr3std10is_base_ofINS5_10DirectBaseET4_EE5valuegtsrT5_10block_sizeLi0EEmE4typeELm256EEEvT1_T0_T2_T3_
		.amdhsa_group_segment_fixed_size 0
		.amdhsa_private_segment_fixed_size 0
		.amdhsa_kernarg_size 100
		.amdhsa_user_sgpr_count 15
		.amdhsa_user_sgpr_dispatch_ptr 0
		.amdhsa_user_sgpr_queue_ptr 0
		.amdhsa_user_sgpr_kernarg_segment_ptr 1
		.amdhsa_user_sgpr_dispatch_id 0
		.amdhsa_user_sgpr_private_segment_size 0
		.amdhsa_wavefront_size32 1
		.amdhsa_uses_dynamic_stack 0
		.amdhsa_enable_private_segment 0
		.amdhsa_system_sgpr_workgroup_id_x 1
		.amdhsa_system_sgpr_workgroup_id_y 0
		.amdhsa_system_sgpr_workgroup_id_z 0
		.amdhsa_system_sgpr_workgroup_info 0
		.amdhsa_system_vgpr_workitem_id 0
		.amdhsa_next_free_vgpr 22
		.amdhsa_next_free_sgpr 25
		.amdhsa_reserve_vcc 1
		.amdhsa_float_round_mode_32 0
		.amdhsa_float_round_mode_16_64 0
		.amdhsa_float_denorm_mode_32 3
		.amdhsa_float_denorm_mode_16_64 3
		.amdhsa_dx10_clamp 1
		.amdhsa_ieee_mode 1
		.amdhsa_fp16_overflow 0
		.amdhsa_workgroup_processor_mode 1
		.amdhsa_memory_ordered 1
		.amdhsa_forward_progress 0
		.amdhsa_shared_vgpr_count 0
		.amdhsa_exception_fp_ieee_invalid_op 0
		.amdhsa_exception_fp_denorm_src 0
		.amdhsa_exception_fp_ieee_div_zero 0
		.amdhsa_exception_fp_ieee_overflow 0
		.amdhsa_exception_fp_ieee_underflow 0
		.amdhsa_exception_fp_ieee_inexact 0
		.amdhsa_exception_int_div_zero 0
	.end_amdhsa_kernel
	.section	.text._ZN4RAJA6policy3hip4impl18forallp_hip_kernelINS1_8hip_execINS_17iteration_mapping6DirectENS_3hip11IndexGlobalILNS_9named_dimE0ELi256ELi0EEENS7_40AvoidDeviceMaxThreadOccupancyConcretizerINS7_34FractionOffsetOccupancyConcretizerINS_8FractionImLm1ELm1EEELln1EEEEELb1EEENS_9Iterators16numeric_iteratorIllPlEEZN8rajaperf5lcals11INT_PREDICT17runHipVariantImplILm256EEEvNSM_9VariantIDEEUllE_lNS_4expt15ForallParamPackIJEEES6_SA_TnNSt9enable_ifIXaasr3std10is_base_ofINS5_10DirectBaseET4_EE5valuegtsrT5_10block_sizeLi0EEmE4typeELm256EEEvT1_T0_T2_T3_,"axG",@progbits,_ZN4RAJA6policy3hip4impl18forallp_hip_kernelINS1_8hip_execINS_17iteration_mapping6DirectENS_3hip11IndexGlobalILNS_9named_dimE0ELi256ELi0EEENS7_40AvoidDeviceMaxThreadOccupancyConcretizerINS7_34FractionOffsetOccupancyConcretizerINS_8FractionImLm1ELm1EEELln1EEEEELb1EEENS_9Iterators16numeric_iteratorIllPlEEZN8rajaperf5lcals11INT_PREDICT17runHipVariantImplILm256EEEvNSM_9VariantIDEEUllE_lNS_4expt15ForallParamPackIJEEES6_SA_TnNSt9enable_ifIXaasr3std10is_base_ofINS5_10DirectBaseET4_EE5valuegtsrT5_10block_sizeLi0EEmE4typeELm256EEEvT1_T0_T2_T3_,comdat
.Lfunc_end1:
	.size	_ZN4RAJA6policy3hip4impl18forallp_hip_kernelINS1_8hip_execINS_17iteration_mapping6DirectENS_3hip11IndexGlobalILNS_9named_dimE0ELi256ELi0EEENS7_40AvoidDeviceMaxThreadOccupancyConcretizerINS7_34FractionOffsetOccupancyConcretizerINS_8FractionImLm1ELm1EEELln1EEEEELb1EEENS_9Iterators16numeric_iteratorIllPlEEZN8rajaperf5lcals11INT_PREDICT17runHipVariantImplILm256EEEvNSM_9VariantIDEEUllE_lNS_4expt15ForallParamPackIJEEES6_SA_TnNSt9enable_ifIXaasr3std10is_base_ofINS5_10DirectBaseET4_EE5valuegtsrT5_10block_sizeLi0EEmE4typeELm256EEEvT1_T0_T2_T3_, .Lfunc_end1-_ZN4RAJA6policy3hip4impl18forallp_hip_kernelINS1_8hip_execINS_17iteration_mapping6DirectENS_3hip11IndexGlobalILNS_9named_dimE0ELi256ELi0EEENS7_40AvoidDeviceMaxThreadOccupancyConcretizerINS7_34FractionOffsetOccupancyConcretizerINS_8FractionImLm1ELm1EEELln1EEEEELb1EEENS_9Iterators16numeric_iteratorIllPlEEZN8rajaperf5lcals11INT_PREDICT17runHipVariantImplILm256EEEvNSM_9VariantIDEEUllE_lNS_4expt15ForallParamPackIJEEES6_SA_TnNSt9enable_ifIXaasr3std10is_base_ofINS5_10DirectBaseET4_EE5valuegtsrT5_10block_sizeLi0EEmE4typeELm256EEEvT1_T0_T2_T3_
                                        ; -- End function
	.section	.AMDGPU.csdata,"",@progbits
; Kernel info:
; codeLenInByte = 708
; NumSgprs: 27
; NumVgprs: 22
; ScratchSize: 0
; MemoryBound: 0
; FloatMode: 240
; IeeeMode: 1
; LDSByteSize: 0 bytes/workgroup (compile time only)
; SGPRBlocks: 3
; VGPRBlocks: 2
; NumSGPRsForWavesPerEU: 27
; NumVGPRsForWavesPerEU: 22
; Occupancy: 16
; WaveLimiterHint : 0
; COMPUTE_PGM_RSRC2:SCRATCH_EN: 0
; COMPUTE_PGM_RSRC2:USER_SGPR: 15
; COMPUTE_PGM_RSRC2:TRAP_HANDLER: 0
; COMPUTE_PGM_RSRC2:TGID_X_EN: 1
; COMPUTE_PGM_RSRC2:TGID_Y_EN: 0
; COMPUTE_PGM_RSRC2:TGID_Z_EN: 0
; COMPUTE_PGM_RSRC2:TIDIG_COMP_CNT: 0
	.text
	.p2alignl 7, 3214868480
	.fill 96, 4, 3214868480
	.type	__hip_cuid_b9dc04fb4416719b,@object ; @__hip_cuid_b9dc04fb4416719b
	.section	.bss,"aw",@nobits
	.globl	__hip_cuid_b9dc04fb4416719b
__hip_cuid_b9dc04fb4416719b:
	.byte	0                               ; 0x0
	.size	__hip_cuid_b9dc04fb4416719b, 1

	.ident	"AMD clang version 19.0.0git (https://github.com/RadeonOpenCompute/llvm-project roc-6.4.0 25133 c7fe45cf4b819c5991fe208aaa96edf142730f1d)"
	.section	".note.GNU-stack","",@progbits
	.addrsig
	.addrsig_sym __hip_cuid_b9dc04fb4416719b
	.amdgpu_metadata
---
amdhsa.kernels:
  - .args:
      - .address_space:  global
        .offset:         0
        .size:           8
        .value_kind:     global_buffer
      - .offset:         8
        .size:           8
        .value_kind:     by_value
      - .offset:         16
        .size:           8
        .value_kind:     by_value
      - .offset:         24
        .size:           8
        .value_kind:     by_value
      - .offset:         32
        .size:           8
        .value_kind:     by_value
      - .offset:         40
        .size:           8
        .value_kind:     by_value
      - .offset:         48
        .size:           8
        .value_kind:     by_value
      - .offset:         56
        .size:           8
        .value_kind:     by_value
      - .offset:         64
        .size:           8
        .value_kind:     by_value
      - .offset:         72
        .size:           8
        .value_kind:     by_value
      - .offset:         80
        .size:           8
        .value_kind:     by_value
    .group_segment_fixed_size: 0
    .kernarg_segment_align: 8
    .kernarg_segment_size: 88
    .language:       OpenCL C
    .language_version:
      - 2
      - 0
    .max_flat_workgroup_size: 256
    .name:           _ZN8rajaperf5lcals11int_predictILm256EEEvPdddddddddll
    .private_segment_fixed_size: 0
    .sgpr_count:     22
    .sgpr_spill_count: 0
    .symbol:         _ZN8rajaperf5lcals11int_predictILm256EEEvPdddddddddll.kd
    .uniform_work_group_size: 1
    .uses_dynamic_stack: false
    .vgpr_count:     22
    .vgpr_spill_count: 0
    .wavefront_size: 32
    .workgroup_processor_mode: 1
  - .args:
      - .offset:         0
        .size:           80
        .value_kind:     by_value
      - .offset:         80
        .size:           8
        .value_kind:     by_value
      - .offset:         88
        .size:           8
        .value_kind:     by_value
      - .offset:         96
        .size:           1
        .value_kind:     by_value
    .group_segment_fixed_size: 0
    .kernarg_segment_align: 8
    .kernarg_segment_size: 100
    .language:       OpenCL C
    .language_version:
      - 2
      - 0
    .max_flat_workgroup_size: 256
    .name:           _ZN4RAJA6policy3hip4impl18forallp_hip_kernelINS1_8hip_execINS_17iteration_mapping6DirectENS_3hip11IndexGlobalILNS_9named_dimE0ELi256ELi0EEENS7_40AvoidDeviceMaxThreadOccupancyConcretizerINS7_34FractionOffsetOccupancyConcretizerINS_8FractionImLm1ELm1EEELln1EEEEELb1EEENS_9Iterators16numeric_iteratorIllPlEEZN8rajaperf5lcals11INT_PREDICT17runHipVariantImplILm256EEEvNSM_9VariantIDEEUllE_lNS_4expt15ForallParamPackIJEEES6_SA_TnNSt9enable_ifIXaasr3std10is_base_ofINS5_10DirectBaseET4_EE5valuegtsrT5_10block_sizeLi0EEmE4typeELm256EEEvT1_T0_T2_T3_
    .private_segment_fixed_size: 0
    .sgpr_count:     27
    .sgpr_spill_count: 0
    .symbol:         _ZN4RAJA6policy3hip4impl18forallp_hip_kernelINS1_8hip_execINS_17iteration_mapping6DirectENS_3hip11IndexGlobalILNS_9named_dimE0ELi256ELi0EEENS7_40AvoidDeviceMaxThreadOccupancyConcretizerINS7_34FractionOffsetOccupancyConcretizerINS_8FractionImLm1ELm1EEELln1EEEEELb1EEENS_9Iterators16numeric_iteratorIllPlEEZN8rajaperf5lcals11INT_PREDICT17runHipVariantImplILm256EEEvNSM_9VariantIDEEUllE_lNS_4expt15ForallParamPackIJEEES6_SA_TnNSt9enable_ifIXaasr3std10is_base_ofINS5_10DirectBaseET4_EE5valuegtsrT5_10block_sizeLi0EEmE4typeELm256EEEvT1_T0_T2_T3_.kd
    .uniform_work_group_size: 1
    .uses_dynamic_stack: false
    .vgpr_count:     22
    .vgpr_spill_count: 0
    .wavefront_size: 32
    .workgroup_processor_mode: 1
amdhsa.target:   amdgcn-amd-amdhsa--gfx1100
amdhsa.version:
  - 1
  - 2
...

	.end_amdgpu_metadata
